;; amdgpu-corpus repo=ROCm/aiter kind=harvested arch=n/a opt=n/a

/root/src/amdgpu-assembly/repos/ROCm__aiter/hsa/gfx950/topksoftmax/topksoftmax_4x128x6_bf16.co:	file format elf64-amdgpu

Disassembly of section .text:

0000000000001c00 <_ZN5aiter24topksoftmax_4x128x6_bf16E>:
	s_and_b32 s1, s1, 0xffff                                   // 000000001C00: 8601FF01 0000FFFF
	s_load_dwordx2 s[4:5], s[0:1], 0x0                         // 000000001C08: C0060100 00000000
	s_load_dwordx2 s[8:9], s[0:1], 0x10                        // 000000001C10: C0060200 00000010
	s_load_dwordx2 s[12:13], s[0:1], 0x20                      // 000000001C18: C0060300 00000020
	s_load_dword s16, s[0:1], 0x30                             // 000000001C20: C0020400 00000030
	s_load_dword s17, s[0:1], 0x40                             // 000000001C28: C0020440 00000040
	s_load_dword s18, s[0:1], 0x50                             // 000000001C30: C0020480 00000050
	s_load_dword s46, s[0:1], 0x60                             // 000000001C38: C0020B80 00000060
	s_load_dword s47, s[0:1], 0x70                             // 000000001C40: C0020BC0 00000070
	v_lshrrev_b32_e32 v1, 10, v0                               // 000000001C48: 2002008A
	v_lshrrev_b32_e32 v2, 10, v1                               // 000000001C4C: 2004028A
	v_and_b32_e32 v2, 0x3ff, v2                                // 000000001C50: 260404FF 000003FF
	v_and_b32_e32 v1, 0x3ff, v1                                // 000000001C58: 260202FF 000003FF
	v_and_b32_e32 v0, 0x3ff, v0                                // 000000001C60: 260000FF 000003FF
	v_lshrrev_b32_e32 v3, 6, v0                                // 000000001C68: 20060086
	v_and_b32_e32 v0, 63, v0                                   // 000000001C6C: 260000BF
	s_mov_b32 s19, s2                                          // 000000001C70: BE930002
	v_readfirstlane_b32 s44, v3                                // 000000001C74: 7E580503
	s_waitcnt lgkmcnt(0)                                       // 000000001C78: BF8CC07F
	s_mov_b32 s6, -16                                          // 000000001C7C: BE8600D0
	s_mov_b32 s10, -16                                         // 000000001C80: BE8A00D0
	s_mov_b32 s14, -16                                         // 000000001C84: BE8E00D0
	s_mov_b32 s7, 0x20000                                      // 000000001C88: BE8700FF 00020000
	s_mov_b32 s11, 0x20000                                     // 000000001C90: BE8B00FF 00020000
	s_mov_b32 s15, 0x20000                                     // 000000001C98: BE8F00FF 00020000
	s_and_b32 s5, s5, 0xffff                                   // 000000001CA0: 8605FF05 0000FFFF
	s_and_b32 s9, s9, 0xffff                                   // 000000001CA8: 8609FF09 0000FFFF
	s_and_b32 s13, s13, 0xffff                                 // 000000001CB0: 860DFF0D 0000FFFF
	s_or_b32 s5, s5, 0x40000                                   // 000000001CB8: 8705FF05 00040000
	s_or_b32 s9, s9, 0x40000                                   // 000000001CC0: 8709FF09 00040000
	s_or_b32 s13, s13, 0x40000                                 // 000000001CC8: 870DFF0D 00040000
	s_mul_i32 s20, s16, s17                                    // 000000001CD0: 92141110
	s_mul_i32 s20, s20, 2                                      // 000000001CD4: 92148214
	s_mov_b32 s14, s20                                         // 000000001CD8: BE8E0014
	v_lshlrev_b32_e32 v8, 1, v0                                // 000000001CDC: 24100081
	s_mul_i32 s20, s17, 2                                      // 000000001CE0: 92148211
	s_mul_i32 s21, s19, 4                                      // 000000001CE4: 92158413
	s_add_i32 s21, s21, s44                                    // 000000001CE8: 81152C15
	s_mul_i32 s20, s20, s21                                    // 000000001CEC: 92141514
	v_add_u32_e32 v8, s20, v8                                  // 000000001CF0: 68101014
	buffer_load_short_d16 v11, v8, s[12:15], 0 offen           // 000000001CF4: E0901000 80030B08
	buffer_load_short_d16 v12, v8, s[12:15], 0 offen offset:128// 000000001CFC: E0901080 80030C08
	v_mov_b32_e32 v15, 0                                       // 000000001D04: 7E1E0280
	v_mov_b32_e32 v16, 0                                       // 000000001D08: 7E200280
	v_mov_b32_e32 v17, 0                                       // 000000001D0C: 7E220280
	v_mov_b32_e32 v18, 0                                       // 000000001D10: 7E240280
	v_mov_b32_e32 v13, 0                                       // 000000001D14: 7E1A0280
	v_mov_b32_e32 v14, 0                                       // 000000001D18: 7E1C0280
	v_mov_b32_e32 v19, 0                                       // 000000001D1C: 7E260280
	s_mov_b32 s18, 6                                           // 000000001D20: BE920086
	v_lshlrev_b32_e32 v9, 2, v0                                // 000000001D24: 24120082
	s_mov_b32 s20, s47                                         // 000000001D28: BE94002F
	s_mul_i32 s21, s19, 4                                      // 000000001D2C: 92158413
	s_add_i32 s21, s21, s44                                    // 000000001D30: 81152C15
	s_mul_i32 s20, s20, s21                                    // 000000001D34: 92141514
	v_add_u32_e32 v9, s20, v9                                  // 000000001D38: 68121214
	v_mov_b32_e32 v10, v9                                      // 000000001D3C: 7E140309
	s_mul_i32 s20, s16, s47                                    // 000000001D40: 92142F10
	s_mov_b32 s6, s20                                          // 000000001D44: BE860014
	s_mov_b32 s10, s20                                         // 000000001D48: BE8A0014
	s_mov_b32 s45, 0x3fb8aa3b                                  // 000000001D4C: BEAD00FF 3FB8AA3B
	s_mov_b32 s32, 0                                           // 000000001D54: BEA00080
	s_mov_b32 s38, 1                                           // 000000001D58: BEA60081
	s_mov_b32 s33, 0                                           // 000000001D5C: BEA10080
	s_mov_b32 s39, 1                                           // 000000001D60: BEA70081
	s_mov_b32 s34, 0                                           // 000000001D64: BEA20080
	s_mov_b32 s40, 1                                           // 000000001D68: BEA80081
	s_mov_b32 s35, 0                                           // 000000001D6C: BEA30080
	s_mov_b32 s41, 1                                           // 000000001D70: BEA90081
	s_mov_b32 s36, 0                                           // 000000001D74: BEA40080
	s_mov_b32 s42, 1                                           // 000000001D78: BEAA0081
	s_mov_b32 s37, 0                                           // 000000001D7C: BEA50080
	s_mov_b32 s43, 1                                           // 000000001D80: BEAB0081
	s_waitcnt vmcnt(0) expcnt(0) lgkmcnt(0)                    // 000000001D84: BF8C0000
	v_lshlrev_b32_e32 v11, 16, v11                             // 000000001D88: 24161690
	v_lshlrev_b32_e32 v12, 16, v12                             // 000000001D8C: 24181890
	v_mul_f32_e64 v11, v11, s45                                // 000000001D90: D105000B 00005B0B
	v_exp_f32_e32 v11, v11                                     // 000000001D98: 7E16410B
	v_mul_f32_e64 v12, v12, s45                                // 000000001D9C: D105000C 00005B0C
	v_exp_f32_e32 v12, v12                                     // 000000001DA4: 7E18410C
	s_nop 0                                                    // 000000001DA8: BF800000
	v_add_f32_e32 v15, v15, v11                                // 000000001DAC: 021E170F
	v_add_f32_e32 v15, v15, v12                                // 000000001DB0: 021E190F
	s_nop 1                                                    // 000000001DB4: BF800001
	v_add_f32_dpp v4, v15, v15 quad_perm:[1,0,3,2] row_mask:0xf bank_mask:0xf// 000000001DB8: 02081EFA FF00B10F
	s_nop 1                                                    // 000000001DC0: BF800001
	v_add_f32_dpp v4, v4, v4 quad_perm:[2,3,0,1] row_mask:0xf bank_mask:0xf// 000000001DC4: 020808FA FF004E04
	s_nop 1                                                    // 000000001DCC: BF800001
	v_add_f32_dpp v4, v4, v4 row_shr:4 row_mask:0xf bank_mask:0xf// 000000001DD0: 020808FA FF011404
	s_nop 1                                                    // 000000001DD8: BF800001
	v_add_f32_dpp v4, v4, v4 row_shr:8 row_mask:0xf bank_mask:0xf// 000000001DDC: 020808FA FF011804
	s_nop 1                                                    // 000000001DE4: BF800001
	v_add_f32_dpp v4, v4, v4 row_bcast:15 row_mask:0xf bank_mask:0xf// 000000001DE8: 020808FA FF014204
	s_nop 1                                                    // 000000001DF0: BF800001
	v_add_f32_dpp v4, v4, v4 row_bcast:31 row_mask:0xf bank_mask:0xf// 000000001DF4: 020808FA FF014304
	s_nop 0                                                    // 000000001DFC: BF800000
	v_readlane_b32 s20, v4, 63                                 // 000000001E00: D2890014 00017F04
	v_mov_b32_e32 v16, s20                                     // 000000001E08: 7E200214
	v_rcp_f32_e32 v15, v16                                     // 000000001E0C: 7E1E4510
	s_nop 0                                                    // 000000001E10: BF800000
	v_mul_f32_e32 v11, v11, v15                                // 000000001E14: 0A161F0B
	v_mul_f32_e32 v12, v12, v15                                // 000000001E18: 0A181F0C
	s_cmp_eq_u32 s46, 0                                        // 000000001E1C: BF06802E
	s_cbranch_scc0 label_01C1                                  // 000000001E20: BF840138
	v_max_f32_e32 v17, v11, v12                                // 000000001E24: 1622190B
	s_nop 1                                                    // 000000001E28: BF800001
	v_max_f32_dpp v4, v17, v17 quad_perm:[1,0,3,2] row_mask:0xf bank_mask:0xf// 000000001E2C: 160822FA FF00B111
	s_nop 1                                                    // 000000001E34: BF800001
	v_max_f32_dpp v4, v4, v4 quad_perm:[2,3,0,1] row_mask:0xf bank_mask:0xf// 000000001E38: 160808FA FF004E04
	s_nop 1                                                    // 000000001E40: BF800001
	v_max_f32_dpp v4, v4, v4 row_shr:4 row_mask:0xf bank_mask:0xf// 000000001E44: 160808FA FF011404
	s_nop 1                                                    // 000000001E4C: BF800001
	v_max_f32_dpp v4, v4, v4 row_shr:8 row_mask:0xf bank_mask:0xf// 000000001E50: 160808FA FF011804
	s_nop 1                                                    // 000000001E58: BF800001
	v_max_f32_dpp v4, v4, v4 row_bcast:15 row_mask:0xf bank_mask:0xf// 000000001E5C: 160808FA FF014204
	s_nop 1                                                    // 000000001E64: BF800001
	v_max_f32_dpp v4, v4, v4 row_bcast:31 row_mask:0xf bank_mask:0xf// 000000001E68: 160808FA FF014304
	s_nop 0                                                    // 000000001E70: BF800000
	v_readlane_b32 s20, v4, 63                                 // 000000001E74: D2890014 00017F04
	v_mov_b32_e32 v17, s20                                     // 000000001E7C: 7E220214
	v_cmp_eq_f32_e64 s[24:25], v17, v11                        // 000000001E80: D0420018 00021711
	v_cmp_eq_f32_e64 s[26:27], v17, v12                        // 000000001E88: D042001A 00021911
	s_ff1_i32_b64 s28, s[24:25]                                // 000000001E90: BE9C1118
	s_ff1_i32_b64 s29, s[26:27]                                // 000000001E94: BE9D111A
	v_readlane_b32 s20, v17, 0                                 // 000000001E98: D2890014 00010111
	v_writelane_b32 v14, s20, 0                                // 000000001EA0: D28A000E 00010014
	s_mov_b32 s22, s28                                         // 000000001EA8: BE96001C
	s_cmp_eq_u32 s28, -1                                       // 000000001EAC: BF06C11C
	s_cselect_b32 s21, 1, 0                                    // 000000001EB0: 85158081
	s_cbranch_scc0 label_00B4                                  // 000000001EB4: BF840006
	s_add_u32 s32, s21, s32                                    // 000000001EB8: 80202015
	s_mov_b32 s22, s29                                         // 000000001EBC: BE96001D
	s_cmp_eq_u32 s29, -1                                       // 000000001EC0: BF06C11D
	s_cselect_b32 s21, 1, 0                                    // 000000001EC4: 85158081
	s_cbranch_scc0 label_00B4                                  // 000000001EC8: BF840001
	s_add_u32 s32, s21, s32                                    // 000000001ECC: 80202015

0000000000001ed0 <label_00B4>:
	s_set_gpr_idx_on s32, gpr_idx(DST)                         // 000000001ED0: BF110820
	v_writelane_b32 v11, 0, s22                                // 000000001ED4: D28A000B 00002C80
	s_set_gpr_idx_off                                          // 000000001EDC: BF9C0000
	s_mul_i32 s32, 64, s32                                     // 000000001EE0: 922020C0
	s_add_u32 s32, s22, s32                                    // 000000001EE4: 80202016
	v_writelane_b32 v13, s32, 0                                // 000000001EE8: D28A000D 00010020
	v_max_f32_e32 v17, v11, v12                                // 000000001EF0: 1622190B
	s_nop 1                                                    // 000000001EF4: BF800001
	v_max_f32_dpp v4, v17, v17 quad_perm:[1,0,3,2] row_mask:0xf bank_mask:0xf// 000000001EF8: 160822FA FF00B111
	s_nop 1                                                    // 000000001F00: BF800001
	v_max_f32_dpp v4, v4, v4 quad_perm:[2,3,0,1] row_mask:0xf bank_mask:0xf// 000000001F04: 160808FA FF004E04
	s_nop 1                                                    // 000000001F0C: BF800001
	v_max_f32_dpp v4, v4, v4 row_shr:4 row_mask:0xf bank_mask:0xf// 000000001F10: 160808FA FF011404
	s_nop 1                                                    // 000000001F18: BF800001
	v_max_f32_dpp v4, v4, v4 row_shr:8 row_mask:0xf bank_mask:0xf// 000000001F1C: 160808FA FF011804
	s_nop 1                                                    // 000000001F24: BF800001
	v_max_f32_dpp v4, v4, v4 row_bcast:15 row_mask:0xf bank_mask:0xf// 000000001F28: 160808FA FF014204
	s_nop 1                                                    // 000000001F30: BF800001
	v_max_f32_dpp v4, v4, v4 row_bcast:31 row_mask:0xf bank_mask:0xf// 000000001F34: 160808FA FF014304
	s_nop 0                                                    // 000000001F3C: BF800000
	v_readlane_b32 s20, v4, 63                                 // 000000001F40: D2890014 00017F04
	v_mov_b32_e32 v17, s20                                     // 000000001F48: 7E220214
	v_cmp_eq_f32_e64 s[24:25], v17, v11                        // 000000001F4C: D0420018 00021711
	v_cmp_eq_f32_e64 s[26:27], v17, v12                        // 000000001F54: D042001A 00021911
	s_ff1_i32_b64 s28, s[24:25]                                // 000000001F5C: BE9C1118
	s_ff1_i32_b64 s29, s[26:27]                                // 000000001F60: BE9D111A
	v_readlane_b32 s20, v17, 0                                 // 000000001F64: D2890014 00010111
	v_writelane_b32 v14, s20, 1                                // 000000001F6C: D28A000E 00010214
	s_mov_b32 s22, s28                                         // 000000001F74: BE96001C
	s_cmp_eq_u32 s28, -1                                       // 000000001F78: BF06C11C
	s_cselect_b32 s21, 1, 0                                    // 000000001F7C: 85158081
	s_cbranch_scc0 label_00E7                                  // 000000001F80: BF840006
	s_add_u32 s33, s21, s33                                    // 000000001F84: 80212115
	s_mov_b32 s22, s29                                         // 000000001F88: BE96001D
	s_cmp_eq_u32 s29, -1                                       // 000000001F8C: BF06C11D
	s_cselect_b32 s21, 1, 0                                    // 000000001F90: 85158081
	s_cbranch_scc0 label_00E7                                  // 000000001F94: BF840001
	s_add_u32 s33, s21, s33                                    // 000000001F98: 80212115

0000000000001f9c <label_00E7>:
	s_set_gpr_idx_on s33, gpr_idx(DST)                         // 000000001F9C: BF110821
	v_writelane_b32 v11, 0, s22                                // 000000001FA0: D28A000B 00002C80
	s_set_gpr_idx_off                                          // 000000001FA8: BF9C0000
	s_mul_i32 s33, 64, s33                                     // 000000001FAC: 922121C0
	s_add_u32 s33, s22, s33                                    // 000000001FB0: 80212116
	v_writelane_b32 v13, s33, 1                                // 000000001FB4: D28A000D 00010221
	v_max_f32_e32 v17, v11, v12                                // 000000001FBC: 1622190B
	s_nop 1                                                    // 000000001FC0: BF800001
	v_max_f32_dpp v4, v17, v17 quad_perm:[1,0,3,2] row_mask:0xf bank_mask:0xf// 000000001FC4: 160822FA FF00B111
	s_nop 1                                                    // 000000001FCC: BF800001
	v_max_f32_dpp v4, v4, v4 quad_perm:[2,3,0,1] row_mask:0xf bank_mask:0xf// 000000001FD0: 160808FA FF004E04
	s_nop 1                                                    // 000000001FD8: BF800001
	v_max_f32_dpp v4, v4, v4 row_shr:4 row_mask:0xf bank_mask:0xf// 000000001FDC: 160808FA FF011404
	s_nop 1                                                    // 000000001FE4: BF800001
	v_max_f32_dpp v4, v4, v4 row_shr:8 row_mask:0xf bank_mask:0xf// 000000001FE8: 160808FA FF011804
	s_nop 1                                                    // 000000001FF0: BF800001
	v_max_f32_dpp v4, v4, v4 row_bcast:15 row_mask:0xf bank_mask:0xf// 000000001FF4: 160808FA FF014204
	s_nop 1                                                    // 000000001FFC: BF800001
	v_max_f32_dpp v4, v4, v4 row_bcast:31 row_mask:0xf bank_mask:0xf// 000000002000: 160808FA FF014304
	s_nop 0                                                    // 000000002008: BF800000
	v_readlane_b32 s20, v4, 63                                 // 00000000200C: D2890014 00017F04
	v_mov_b32_e32 v17, s20                                     // 000000002014: 7E220214
	v_cmp_eq_f32_e64 s[24:25], v17, v11                        // 000000002018: D0420018 00021711
	v_cmp_eq_f32_e64 s[26:27], v17, v12                        // 000000002020: D042001A 00021911
	s_ff1_i32_b64 s28, s[24:25]                                // 000000002028: BE9C1118
	s_ff1_i32_b64 s29, s[26:27]                                // 00000000202C: BE9D111A
	v_readlane_b32 s20, v17, 0                                 // 000000002030: D2890014 00010111
	v_writelane_b32 v14, s20, 2                                // 000000002038: D28A000E 00010414
	s_mov_b32 s22, s28                                         // 000000002040: BE96001C
	s_cmp_eq_u32 s28, -1                                       // 000000002044: BF06C11C
	s_cselect_b32 s21, 1, 0                                    // 000000002048: 85158081
	s_cbranch_scc0 label_011A                                  // 00000000204C: BF840006
	s_add_u32 s34, s21, s34                                    // 000000002050: 80222215
	s_mov_b32 s22, s29                                         // 000000002054: BE96001D
	s_cmp_eq_u32 s29, -1                                       // 000000002058: BF06C11D
	s_cselect_b32 s21, 1, 0                                    // 00000000205C: 85158081
	s_cbranch_scc0 label_011A                                  // 000000002060: BF840001
	s_add_u32 s34, s21, s34                                    // 000000002064: 80222215

0000000000002068 <label_011A>:
	s_set_gpr_idx_on s34, gpr_idx(DST)                         // 000000002068: BF110822
	v_writelane_b32 v11, 0, s22                                // 00000000206C: D28A000B 00002C80
	s_set_gpr_idx_off                                          // 000000002074: BF9C0000
	s_mul_i32 s34, 64, s34                                     // 000000002078: 922222C0
	s_add_u32 s34, s22, s34                                    // 00000000207C: 80222216
	v_writelane_b32 v13, s34, 2                                // 000000002080: D28A000D 00010422
	v_max_f32_e32 v17, v11, v12                                // 000000002088: 1622190B
	s_nop 1                                                    // 00000000208C: BF800001
	v_max_f32_dpp v4, v17, v17 quad_perm:[1,0,3,2] row_mask:0xf bank_mask:0xf// 000000002090: 160822FA FF00B111
	s_nop 1                                                    // 000000002098: BF800001
	v_max_f32_dpp v4, v4, v4 quad_perm:[2,3,0,1] row_mask:0xf bank_mask:0xf// 00000000209C: 160808FA FF004E04
	s_nop 1                                                    // 0000000020A4: BF800001
	v_max_f32_dpp v4, v4, v4 row_shr:4 row_mask:0xf bank_mask:0xf// 0000000020A8: 160808FA FF011404
	s_nop 1                                                    // 0000000020B0: BF800001
	v_max_f32_dpp v4, v4, v4 row_shr:8 row_mask:0xf bank_mask:0xf// 0000000020B4: 160808FA FF011804
	s_nop 1                                                    // 0000000020BC: BF800001
	v_max_f32_dpp v4, v4, v4 row_bcast:15 row_mask:0xf bank_mask:0xf// 0000000020C0: 160808FA FF014204
	s_nop 1                                                    // 0000000020C8: BF800001
	v_max_f32_dpp v4, v4, v4 row_bcast:31 row_mask:0xf bank_mask:0xf// 0000000020CC: 160808FA FF014304
	s_nop 0                                                    // 0000000020D4: BF800000
	v_readlane_b32 s20, v4, 63                                 // 0000000020D8: D2890014 00017F04
	v_mov_b32_e32 v17, s20                                     // 0000000020E0: 7E220214
	v_cmp_eq_f32_e64 s[24:25], v17, v11                        // 0000000020E4: D0420018 00021711
	v_cmp_eq_f32_e64 s[26:27], v17, v12                        // 0000000020EC: D042001A 00021911
	s_ff1_i32_b64 s28, s[24:25]                                // 0000000020F4: BE9C1118
	s_ff1_i32_b64 s29, s[26:27]                                // 0000000020F8: BE9D111A
	v_readlane_b32 s20, v17, 0                                 // 0000000020FC: D2890014 00010111
	v_writelane_b32 v14, s20, 3                                // 000000002104: D28A000E 00010614
	s_mov_b32 s22, s28                                         // 00000000210C: BE96001C
	s_cmp_eq_u32 s28, -1                                       // 000000002110: BF06C11C
	s_cselect_b32 s21, 1, 0                                    // 000000002114: 85158081
	s_cbranch_scc0 label_014D                                  // 000000002118: BF840006
	s_add_u32 s35, s21, s35                                    // 00000000211C: 80232315
	s_mov_b32 s22, s29                                         // 000000002120: BE96001D
	s_cmp_eq_u32 s29, -1                                       // 000000002124: BF06C11D
	s_cselect_b32 s21, 1, 0                                    // 000000002128: 85158081
	s_cbranch_scc0 label_014D                                  // 00000000212C: BF840001
	s_add_u32 s35, s21, s35                                    // 000000002130: 80232315

0000000000002134 <label_014D>:
	s_set_gpr_idx_on s35, gpr_idx(DST)                         // 000000002134: BF110823
	v_writelane_b32 v11, 0, s22                                // 000000002138: D28A000B 00002C80
	s_set_gpr_idx_off                                          // 000000002140: BF9C0000
	s_mul_i32 s35, 64, s35                                     // 000000002144: 922323C0
	s_add_u32 s35, s22, s35                                    // 000000002148: 80232316
	v_writelane_b32 v13, s35, 3                                // 00000000214C: D28A000D 00010623
	v_max_f32_e32 v17, v11, v12                                // 000000002154: 1622190B
	s_nop 1                                                    // 000000002158: BF800001
	v_max_f32_dpp v4, v17, v17 quad_perm:[1,0,3,2] row_mask:0xf bank_mask:0xf// 00000000215C: 160822FA FF00B111
	s_nop 1                                                    // 000000002164: BF800001
	v_max_f32_dpp v4, v4, v4 quad_perm:[2,3,0,1] row_mask:0xf bank_mask:0xf// 000000002168: 160808FA FF004E04
	s_nop 1                                                    // 000000002170: BF800001
	v_max_f32_dpp v4, v4, v4 row_shr:4 row_mask:0xf bank_mask:0xf// 000000002174: 160808FA FF011404
	s_nop 1                                                    // 00000000217C: BF800001
	v_max_f32_dpp v4, v4, v4 row_shr:8 row_mask:0xf bank_mask:0xf// 000000002180: 160808FA FF011804
	s_nop 1                                                    // 000000002188: BF800001
	v_max_f32_dpp v4, v4, v4 row_bcast:15 row_mask:0xf bank_mask:0xf// 00000000218C: 160808FA FF014204
	s_nop 1                                                    // 000000002194: BF800001
	v_max_f32_dpp v4, v4, v4 row_bcast:31 row_mask:0xf bank_mask:0xf// 000000002198: 160808FA FF014304
	s_nop 0                                                    // 0000000021A0: BF800000
	v_readlane_b32 s20, v4, 63                                 // 0000000021A4: D2890014 00017F04
	v_mov_b32_e32 v17, s20                                     // 0000000021AC: 7E220214
	v_cmp_eq_f32_e64 s[24:25], v17, v11                        // 0000000021B0: D0420018 00021711
	v_cmp_eq_f32_e64 s[26:27], v17, v12                        // 0000000021B8: D042001A 00021911
	s_ff1_i32_b64 s28, s[24:25]                                // 0000000021C0: BE9C1118
	s_ff1_i32_b64 s29, s[26:27]                                // 0000000021C4: BE9D111A
	v_readlane_b32 s20, v17, 0                                 // 0000000021C8: D2890014 00010111
	v_writelane_b32 v14, s20, 4                                // 0000000021D0: D28A000E 00010814
	s_mov_b32 s22, s28                                         // 0000000021D8: BE96001C
	s_cmp_eq_u32 s28, -1                                       // 0000000021DC: BF06C11C
	s_cselect_b32 s21, 1, 0                                    // 0000000021E0: 85158081
	s_cbranch_scc0 label_0180                                  // 0000000021E4: BF840006
	s_add_u32 s36, s21, s36                                    // 0000000021E8: 80242415
	s_mov_b32 s22, s29                                         // 0000000021EC: BE96001D
	s_cmp_eq_u32 s29, -1                                       // 0000000021F0: BF06C11D
	s_cselect_b32 s21, 1, 0                                    // 0000000021F4: 85158081
	s_cbranch_scc0 label_0180                                  // 0000000021F8: BF840001
	s_add_u32 s36, s21, s36                                    // 0000000021FC: 80242415

0000000000002200 <label_0180>:
	s_set_gpr_idx_on s36, gpr_idx(DST)                         // 000000002200: BF110824
	v_writelane_b32 v11, 0, s22                                // 000000002204: D28A000B 00002C80
	s_set_gpr_idx_off                                          // 00000000220C: BF9C0000
	s_mul_i32 s36, 64, s36                                     // 000000002210: 922424C0
	s_add_u32 s36, s22, s36                                    // 000000002214: 80242416
	v_writelane_b32 v13, s36, 4                                // 000000002218: D28A000D 00010824
	v_max_f32_e32 v17, v11, v12                                // 000000002220: 1622190B
	s_nop 1                                                    // 000000002224: BF800001
	v_max_f32_dpp v4, v17, v17 quad_perm:[1,0,3,2] row_mask:0xf bank_mask:0xf// 000000002228: 160822FA FF00B111
	s_nop 1                                                    // 000000002230: BF800001
	v_max_f32_dpp v4, v4, v4 quad_perm:[2,3,0,1] row_mask:0xf bank_mask:0xf// 000000002234: 160808FA FF004E04
	s_nop 1                                                    // 00000000223C: BF800001
	v_max_f32_dpp v4, v4, v4 row_shr:4 row_mask:0xf bank_mask:0xf// 000000002240: 160808FA FF011404
	s_nop 1                                                    // 000000002248: BF800001
	v_max_f32_dpp v4, v4, v4 row_shr:8 row_mask:0xf bank_mask:0xf// 00000000224C: 160808FA FF011804
	s_nop 1                                                    // 000000002254: BF800001
	v_max_f32_dpp v4, v4, v4 row_bcast:15 row_mask:0xf bank_mask:0xf// 000000002258: 160808FA FF014204
	s_nop 1                                                    // 000000002260: BF800001
	v_max_f32_dpp v4, v4, v4 row_bcast:31 row_mask:0xf bank_mask:0xf// 000000002264: 160808FA FF014304
	s_nop 0                                                    // 00000000226C: BF800000
	v_readlane_b32 s20, v4, 63                                 // 000000002270: D2890014 00017F04
	v_mov_b32_e32 v17, s20                                     // 000000002278: 7E220214
	v_cmp_eq_f32_e64 s[24:25], v17, v11                        // 00000000227C: D0420018 00021711
	v_cmp_eq_f32_e64 s[26:27], v17, v12                        // 000000002284: D042001A 00021911
	s_ff1_i32_b64 s28, s[24:25]                                // 00000000228C: BE9C1118
	s_ff1_i32_b64 s29, s[26:27]                                // 000000002290: BE9D111A
	v_readlane_b32 s20, v17, 0                                 // 000000002294: D2890014 00010111
	v_writelane_b32 v14, s20, 5                                // 00000000229C: D28A000E 00010A14
	s_mov_b32 s22, s28                                         // 0000000022A4: BE96001C
	s_cmp_eq_u32 s28, -1                                       // 0000000022A8: BF06C11C
	s_cselect_b32 s21, 1, 0                                    // 0000000022AC: 85158081
	s_cbranch_scc0 label_01B3                                  // 0000000022B0: BF840006
	s_add_u32 s37, s21, s37                                    // 0000000022B4: 80252515
	s_mov_b32 s22, s29                                         // 0000000022B8: BE96001D
	s_cmp_eq_u32 s29, -1                                       // 0000000022BC: BF06C11D
	s_cselect_b32 s21, 1, 0                                    // 0000000022C0: 85158081
	s_cbranch_scc0 label_01B3                                  // 0000000022C4: BF840001
	s_add_u32 s37, s21, s37                                    // 0000000022C8: 80252515

00000000000022cc <label_01B3>:
	s_set_gpr_idx_on s37, gpr_idx(DST)                         // 0000000022CC: BF110825
	v_writelane_b32 v11, 0, s22                                // 0000000022D0: D28A000B 00002C80
	s_set_gpr_idx_off                                          // 0000000022D8: BF9C0000
	s_mul_i32 s37, 64, s37                                     // 0000000022DC: 922525C0
	s_add_u32 s37, s22, s37                                    // 0000000022E0: 80252516
	v_writelane_b32 v13, s37, 5                                // 0000000022E4: D28A000D 00010A25
	s_bfm_b64 exec, s18, 0                                     // 0000000022EC: 91FE8012
	buffer_store_dword v13, v9, s[4:7], 0 offen                // 0000000022F0: E0701000 80010D09
	buffer_store_dword v14, v10, s[8:11], 0 offen              // 0000000022F8: E0701000 80020E0A
	s_branch label_0301                                        // 000000002300: BF820140

0000000000002304 <label_01C1>:
	v_max_f32_e32 v17, v11, v12                                // 000000002304: 1622190B
	s_nop 1                                                    // 000000002308: BF800001
	v_max_f32_dpp v4, v17, v17 quad_perm:[1,0,3,2] row_mask:0xf bank_mask:0xf// 00000000230C: 160822FA FF00B111
	s_nop 1                                                    // 000000002314: BF800001
	v_max_f32_dpp v4, v4, v4 quad_perm:[2,3,0,1] row_mask:0xf bank_mask:0xf// 000000002318: 160808FA FF004E04
	s_nop 1                                                    // 000000002320: BF800001
	v_max_f32_dpp v4, v4, v4 row_shr:4 row_mask:0xf bank_mask:0xf// 000000002324: 160808FA FF011404
	s_nop 1                                                    // 00000000232C: BF800001
	v_max_f32_dpp v4, v4, v4 row_shr:8 row_mask:0xf bank_mask:0xf// 000000002330: 160808FA FF011804
	s_nop 1                                                    // 000000002338: BF800001
	v_max_f32_dpp v4, v4, v4 row_bcast:15 row_mask:0xf bank_mask:0xf// 00000000233C: 160808FA FF014204
	s_nop 1                                                    // 000000002344: BF800001
	v_max_f32_dpp v4, v4, v4 row_bcast:31 row_mask:0xf bank_mask:0xf// 000000002348: 160808FA FF014304
	s_nop 0                                                    // 000000002350: BF800000
	v_readlane_b32 s20, v4, 63                                 // 000000002354: D2890014 00017F04
	v_mov_b32_e32 v17, s20                                     // 00000000235C: 7E220214
	v_add_f32_e32 v19, v19, v17                                // 000000002360: 02262313
	v_cmp_eq_f32_e64 s[24:25], v17, v11                        // 000000002364: D0420018 00021711
	v_cmp_eq_f32_e64 s[26:27], v17, v12                        // 00000000236C: D042001A 00021911
	s_ff1_i32_b64 s28, s[24:25]                                // 000000002374: BE9C1118
	s_ff1_i32_b64 s29, s[26:27]                                // 000000002378: BE9D111A
	v_readlane_b32 s20, v17, 0                                 // 00000000237C: D2890014 00010111
	v_writelane_b32 v14, s20, 0                                // 000000002384: D28A000E 00010014
	s_mov_b32 s22, s28                                         // 00000000238C: BE96001C
	s_cmp_eq_u32 s28, -1                                       // 000000002390: BF06C11C
	s_cselect_b32 s21, 1, 0                                    // 000000002394: 85158081
	s_cbranch_scc0 label_01ED                                  // 000000002398: BF840006
	s_add_u32 s32, s21, s32                                    // 00000000239C: 80202015
	s_mov_b32 s22, s29                                         // 0000000023A0: BE96001D
	s_cmp_eq_u32 s29, -1                                       // 0000000023A4: BF06C11D
	s_cselect_b32 s21, 1, 0                                    // 0000000023A8: 85158081
	s_cbranch_scc0 label_01ED                                  // 0000000023AC: BF840001
	s_add_u32 s32, s21, s32                                    // 0000000023B0: 80202015

00000000000023b4 <label_01ED>:
	s_set_gpr_idx_on s32, gpr_idx(DST)                         // 0000000023B4: BF110820
	v_writelane_b32 v11, 0, s22                                // 0000000023B8: D28A000B 00002C80
	s_set_gpr_idx_off                                          // 0000000023C0: BF9C0000
	s_mul_i32 s32, 64, s32                                     // 0000000023C4: 922020C0
	s_add_u32 s32, s22, s32                                    // 0000000023C8: 80202016
	v_writelane_b32 v13, s32, 0                                // 0000000023CC: D28A000D 00010020
	v_max_f32_e32 v17, v11, v12                                // 0000000023D4: 1622190B
	s_nop 1                                                    // 0000000023D8: BF800001
	v_max_f32_dpp v4, v17, v17 quad_perm:[1,0,3,2] row_mask:0xf bank_mask:0xf// 0000000023DC: 160822FA FF00B111
	s_nop 1                                                    // 0000000023E4: BF800001
	v_max_f32_dpp v4, v4, v4 quad_perm:[2,3,0,1] row_mask:0xf bank_mask:0xf// 0000000023E8: 160808FA FF004E04
	s_nop 1                                                    // 0000000023F0: BF800001
	v_max_f32_dpp v4, v4, v4 row_shr:4 row_mask:0xf bank_mask:0xf// 0000000023F4: 160808FA FF011404
	s_nop 1                                                    // 0000000023FC: BF800001
	v_max_f32_dpp v4, v4, v4 row_shr:8 row_mask:0xf bank_mask:0xf// 000000002400: 160808FA FF011804
	s_nop 1                                                    // 000000002408: BF800001
	v_max_f32_dpp v4, v4, v4 row_bcast:15 row_mask:0xf bank_mask:0xf// 00000000240C: 160808FA FF014204
	s_nop 1                                                    // 000000002414: BF800001
	v_max_f32_dpp v4, v4, v4 row_bcast:31 row_mask:0xf bank_mask:0xf// 000000002418: 160808FA FF014304
	s_nop 0                                                    // 000000002420: BF800000
	v_readlane_b32 s20, v4, 63                                 // 000000002424: D2890014 00017F04
	v_mov_b32_e32 v17, s20                                     // 00000000242C: 7E220214
	v_add_f32_e32 v19, v19, v17                                // 000000002430: 02262313
	v_cmp_eq_f32_e64 s[24:25], v17, v11                        // 000000002434: D0420018 00021711
	v_cmp_eq_f32_e64 s[26:27], v17, v12                        // 00000000243C: D042001A 00021911
	s_ff1_i32_b64 s28, s[24:25]                                // 000000002444: BE9C1118
	s_ff1_i32_b64 s29, s[26:27]                                // 000000002448: BE9D111A
	v_readlane_b32 s20, v17, 0                                 // 00000000244C: D2890014 00010111
	v_writelane_b32 v14, s20, 1                                // 000000002454: D28A000E 00010214
	s_mov_b32 s22, s28                                         // 00000000245C: BE96001C
	s_cmp_eq_u32 s28, -1                                       // 000000002460: BF06C11C
	s_cselect_b32 s21, 1, 0                                    // 000000002464: 85158081
	s_cbranch_scc0 label_0221                                  // 000000002468: BF840006
	s_add_u32 s33, s21, s33                                    // 00000000246C: 80212115
	s_mov_b32 s22, s29                                         // 000000002470: BE96001D
	s_cmp_eq_u32 s29, -1                                       // 000000002474: BF06C11D
	s_cselect_b32 s21, 1, 0                                    // 000000002478: 85158081
	s_cbranch_scc0 label_0221                                  // 00000000247C: BF840001
	s_add_u32 s33, s21, s33                                    // 000000002480: 80212115

0000000000002484 <label_0221>:
	s_set_gpr_idx_on s33, gpr_idx(DST)                         // 000000002484: BF110821
	v_writelane_b32 v11, 0, s22                                // 000000002488: D28A000B 00002C80
	s_set_gpr_idx_off                                          // 000000002490: BF9C0000
	s_mul_i32 s33, 64, s33                                     // 000000002494: 922121C0
	s_add_u32 s33, s22, s33                                    // 000000002498: 80212116
	v_writelane_b32 v13, s33, 1                                // 00000000249C: D28A000D 00010221
	v_max_f32_e32 v17, v11, v12                                // 0000000024A4: 1622190B
	s_nop 1                                                    // 0000000024A8: BF800001
	v_max_f32_dpp v4, v17, v17 quad_perm:[1,0,3,2] row_mask:0xf bank_mask:0xf// 0000000024AC: 160822FA FF00B111
	s_nop 1                                                    // 0000000024B4: BF800001
	v_max_f32_dpp v4, v4, v4 quad_perm:[2,3,0,1] row_mask:0xf bank_mask:0xf// 0000000024B8: 160808FA FF004E04
	s_nop 1                                                    // 0000000024C0: BF800001
	v_max_f32_dpp v4, v4, v4 row_shr:4 row_mask:0xf bank_mask:0xf// 0000000024C4: 160808FA FF011404
	s_nop 1                                                    // 0000000024CC: BF800001
	v_max_f32_dpp v4, v4, v4 row_shr:8 row_mask:0xf bank_mask:0xf// 0000000024D0: 160808FA FF011804
	s_nop 1                                                    // 0000000024D8: BF800001
	v_max_f32_dpp v4, v4, v4 row_bcast:15 row_mask:0xf bank_mask:0xf// 0000000024DC: 160808FA FF014204
	s_nop 1                                                    // 0000000024E4: BF800001
	v_max_f32_dpp v4, v4, v4 row_bcast:31 row_mask:0xf bank_mask:0xf// 0000000024E8: 160808FA FF014304
	s_nop 0                                                    // 0000000024F0: BF800000
	v_readlane_b32 s20, v4, 63                                 // 0000000024F4: D2890014 00017F04
	v_mov_b32_e32 v17, s20                                     // 0000000024FC: 7E220214
	v_add_f32_e32 v19, v19, v17                                // 000000002500: 02262313
	v_cmp_eq_f32_e64 s[24:25], v17, v11                        // 000000002504: D0420018 00021711
	v_cmp_eq_f32_e64 s[26:27], v17, v12                        // 00000000250C: D042001A 00021911
	s_ff1_i32_b64 s28, s[24:25]                                // 000000002514: BE9C1118
	s_ff1_i32_b64 s29, s[26:27]                                // 000000002518: BE9D111A
	v_readlane_b32 s20, v17, 0                                 // 00000000251C: D2890014 00010111
	v_writelane_b32 v14, s20, 2                                // 000000002524: D28A000E 00010414
	s_mov_b32 s22, s28                                         // 00000000252C: BE96001C
	s_cmp_eq_u32 s28, -1                                       // 000000002530: BF06C11C
	s_cselect_b32 s21, 1, 0                                    // 000000002534: 85158081
	s_cbranch_scc0 label_0255                                  // 000000002538: BF840006
	s_add_u32 s34, s21, s34                                    // 00000000253C: 80222215
	s_mov_b32 s22, s29                                         // 000000002540: BE96001D
	s_cmp_eq_u32 s29, -1                                       // 000000002544: BF06C11D
	s_cselect_b32 s21, 1, 0                                    // 000000002548: 85158081
	s_cbranch_scc0 label_0255                                  // 00000000254C: BF840001
	s_add_u32 s34, s21, s34                                    // 000000002550: 80222215

0000000000002554 <label_0255>:
	s_set_gpr_idx_on s34, gpr_idx(DST)                         // 000000002554: BF110822
	v_writelane_b32 v11, 0, s22                                // 000000002558: D28A000B 00002C80
	s_set_gpr_idx_off                                          // 000000002560: BF9C0000
	s_mul_i32 s34, 64, s34                                     // 000000002564: 922222C0
	s_add_u32 s34, s22, s34                                    // 000000002568: 80222216
	v_writelane_b32 v13, s34, 2                                // 00000000256C: D28A000D 00010422
	v_max_f32_e32 v17, v11, v12                                // 000000002574: 1622190B
	s_nop 1                                                    // 000000002578: BF800001
	v_max_f32_dpp v4, v17, v17 quad_perm:[1,0,3,2] row_mask:0xf bank_mask:0xf// 00000000257C: 160822FA FF00B111
	s_nop 1                                                    // 000000002584: BF800001
	v_max_f32_dpp v4, v4, v4 quad_perm:[2,3,0,1] row_mask:0xf bank_mask:0xf// 000000002588: 160808FA FF004E04
	s_nop 1                                                    // 000000002590: BF800001
	v_max_f32_dpp v4, v4, v4 row_shr:4 row_mask:0xf bank_mask:0xf// 000000002594: 160808FA FF011404
	s_nop 1                                                    // 00000000259C: BF800001
	v_max_f32_dpp v4, v4, v4 row_shr:8 row_mask:0xf bank_mask:0xf// 0000000025A0: 160808FA FF011804
	s_nop 1                                                    // 0000000025A8: BF800001
	v_max_f32_dpp v4, v4, v4 row_bcast:15 row_mask:0xf bank_mask:0xf// 0000000025AC: 160808FA FF014204
	s_nop 1                                                    // 0000000025B4: BF800001
	v_max_f32_dpp v4, v4, v4 row_bcast:31 row_mask:0xf bank_mask:0xf// 0000000025B8: 160808FA FF014304
	s_nop 0                                                    // 0000000025C0: BF800000
	v_readlane_b32 s20, v4, 63                                 // 0000000025C4: D2890014 00017F04
	v_mov_b32_e32 v17, s20                                     // 0000000025CC: 7E220214
	v_add_f32_e32 v19, v19, v17                                // 0000000025D0: 02262313
	v_cmp_eq_f32_e64 s[24:25], v17, v11                        // 0000000025D4: D0420018 00021711
	v_cmp_eq_f32_e64 s[26:27], v17, v12                        // 0000000025DC: D042001A 00021911
	s_ff1_i32_b64 s28, s[24:25]                                // 0000000025E4: BE9C1118
	s_ff1_i32_b64 s29, s[26:27]                                // 0000000025E8: BE9D111A
	v_readlane_b32 s20, v17, 0                                 // 0000000025EC: D2890014 00010111
	v_writelane_b32 v14, s20, 3                                // 0000000025F4: D28A000E 00010614
	s_mov_b32 s22, s28                                         // 0000000025FC: BE96001C
	s_cmp_eq_u32 s28, -1                                       // 000000002600: BF06C11C
	s_cselect_b32 s21, 1, 0                                    // 000000002604: 85158081
	s_cbranch_scc0 label_0289                                  // 000000002608: BF840006
	s_add_u32 s35, s21, s35                                    // 00000000260C: 80232315
	s_mov_b32 s22, s29                                         // 000000002610: BE96001D
	s_cmp_eq_u32 s29, -1                                       // 000000002614: BF06C11D
	s_cselect_b32 s21, 1, 0                                    // 000000002618: 85158081
	s_cbranch_scc0 label_0289                                  // 00000000261C: BF840001
	s_add_u32 s35, s21, s35                                    // 000000002620: 80232315

0000000000002624 <label_0289>:
	s_set_gpr_idx_on s35, gpr_idx(DST)                         // 000000002624: BF110823
	v_writelane_b32 v11, 0, s22                                // 000000002628: D28A000B 00002C80
	s_set_gpr_idx_off                                          // 000000002630: BF9C0000
	s_mul_i32 s35, 64, s35                                     // 000000002634: 922323C0
	s_add_u32 s35, s22, s35                                    // 000000002638: 80232316
	v_writelane_b32 v13, s35, 3                                // 00000000263C: D28A000D 00010623
	v_max_f32_e32 v17, v11, v12                                // 000000002644: 1622190B
	s_nop 1                                                    // 000000002648: BF800001
	v_max_f32_dpp v4, v17, v17 quad_perm:[1,0,3,2] row_mask:0xf bank_mask:0xf// 00000000264C: 160822FA FF00B111
	s_nop 1                                                    // 000000002654: BF800001
	v_max_f32_dpp v4, v4, v4 quad_perm:[2,3,0,1] row_mask:0xf bank_mask:0xf// 000000002658: 160808FA FF004E04
	s_nop 1                                                    // 000000002660: BF800001
	v_max_f32_dpp v4, v4, v4 row_shr:4 row_mask:0xf bank_mask:0xf// 000000002664: 160808FA FF011404
	s_nop 1                                                    // 00000000266C: BF800001
	v_max_f32_dpp v4, v4, v4 row_shr:8 row_mask:0xf bank_mask:0xf// 000000002670: 160808FA FF011804
	s_nop 1                                                    // 000000002678: BF800001
	v_max_f32_dpp v4, v4, v4 row_bcast:15 row_mask:0xf bank_mask:0xf// 00000000267C: 160808FA FF014204
	s_nop 1                                                    // 000000002684: BF800001
	v_max_f32_dpp v4, v4, v4 row_bcast:31 row_mask:0xf bank_mask:0xf// 000000002688: 160808FA FF014304
	s_nop 0                                                    // 000000002690: BF800000
	v_readlane_b32 s20, v4, 63                                 // 000000002694: D2890014 00017F04
	v_mov_b32_e32 v17, s20                                     // 00000000269C: 7E220214
	v_add_f32_e32 v19, v19, v17                                // 0000000026A0: 02262313
	v_cmp_eq_f32_e64 s[24:25], v17, v11                        // 0000000026A4: D0420018 00021711
	v_cmp_eq_f32_e64 s[26:27], v17, v12                        // 0000000026AC: D042001A 00021911
	s_ff1_i32_b64 s28, s[24:25]                                // 0000000026B4: BE9C1118
	s_ff1_i32_b64 s29, s[26:27]                                // 0000000026B8: BE9D111A
	v_readlane_b32 s20, v17, 0                                 // 0000000026BC: D2890014 00010111
	v_writelane_b32 v14, s20, 4                                // 0000000026C4: D28A000E 00010814
	s_mov_b32 s22, s28                                         // 0000000026CC: BE96001C
	s_cmp_eq_u32 s28, -1                                       // 0000000026D0: BF06C11C
	s_cselect_b32 s21, 1, 0                                    // 0000000026D4: 85158081
	s_cbranch_scc0 label_02BD                                  // 0000000026D8: BF840006
	s_add_u32 s36, s21, s36                                    // 0000000026DC: 80242415
	s_mov_b32 s22, s29                                         // 0000000026E0: BE96001D
	s_cmp_eq_u32 s29, -1                                       // 0000000026E4: BF06C11D
	s_cselect_b32 s21, 1, 0                                    // 0000000026E8: 85158081
	s_cbranch_scc0 label_02BD                                  // 0000000026EC: BF840001
	s_add_u32 s36, s21, s36                                    // 0000000026F0: 80242415

00000000000026f4 <label_02BD>:
	s_set_gpr_idx_on s36, gpr_idx(DST)                         // 0000000026F4: BF110824
	v_writelane_b32 v11, 0, s22                                // 0000000026F8: D28A000B 00002C80
	s_set_gpr_idx_off                                          // 000000002700: BF9C0000
	s_mul_i32 s36, 64, s36                                     // 000000002704: 922424C0
	s_add_u32 s36, s22, s36                                    // 000000002708: 80242416
	v_writelane_b32 v13, s36, 4                                // 00000000270C: D28A000D 00010824
	v_max_f32_e32 v17, v11, v12                                // 000000002714: 1622190B
	s_nop 1                                                    // 000000002718: BF800001
	v_max_f32_dpp v4, v17, v17 quad_perm:[1,0,3,2] row_mask:0xf bank_mask:0xf// 00000000271C: 160822FA FF00B111
	s_nop 1                                                    // 000000002724: BF800001
	v_max_f32_dpp v4, v4, v4 quad_perm:[2,3,0,1] row_mask:0xf bank_mask:0xf// 000000002728: 160808FA FF004E04
	s_nop 1                                                    // 000000002730: BF800001
	v_max_f32_dpp v4, v4, v4 row_shr:4 row_mask:0xf bank_mask:0xf// 000000002734: 160808FA FF011404
	s_nop 1                                                    // 00000000273C: BF800001
	v_max_f32_dpp v4, v4, v4 row_shr:8 row_mask:0xf bank_mask:0xf// 000000002740: 160808FA FF011804
	s_nop 1                                                    // 000000002748: BF800001
	v_max_f32_dpp v4, v4, v4 row_bcast:15 row_mask:0xf bank_mask:0xf// 00000000274C: 160808FA FF014204
	s_nop 1                                                    // 000000002754: BF800001
	v_max_f32_dpp v4, v4, v4 row_bcast:31 row_mask:0xf bank_mask:0xf// 000000002758: 160808FA FF014304
	s_nop 0                                                    // 000000002760: BF800000
	v_readlane_b32 s20, v4, 63                                 // 000000002764: D2890014 00017F04
	v_mov_b32_e32 v17, s20                                     // 00000000276C: 7E220214
	v_add_f32_e32 v19, v19, v17                                // 000000002770: 02262313
	v_cmp_eq_f32_e64 s[24:25], v17, v11                        // 000000002774: D0420018 00021711
	v_cmp_eq_f32_e64 s[26:27], v17, v12                        // 00000000277C: D042001A 00021911
	s_ff1_i32_b64 s28, s[24:25]                                // 000000002784: BE9C1118
	s_ff1_i32_b64 s29, s[26:27]                                // 000000002788: BE9D111A
	v_readlane_b32 s20, v17, 0                                 // 00000000278C: D2890014 00010111
	v_writelane_b32 v14, s20, 5                                // 000000002794: D28A000E 00010A14
	s_mov_b32 s22, s28                                         // 00000000279C: BE96001C
	s_cmp_eq_u32 s28, -1                                       // 0000000027A0: BF06C11C
	s_cselect_b32 s21, 1, 0                                    // 0000000027A4: 85158081
	s_cbranch_scc0 label_02F1                                  // 0000000027A8: BF840006
	s_add_u32 s37, s21, s37                                    // 0000000027AC: 80252515
	s_mov_b32 s22, s29                                         // 0000000027B0: BE96001D
	s_cmp_eq_u32 s29, -1                                       // 0000000027B4: BF06C11D
	s_cselect_b32 s21, 1, 0                                    // 0000000027B8: 85158081
	s_cbranch_scc0 label_02F1                                  // 0000000027BC: BF840001
	s_add_u32 s37, s21, s37                                    // 0000000027C0: 80252515

00000000000027c4 <label_02F1>:
	s_set_gpr_idx_on s37, gpr_idx(DST)                         // 0000000027C4: BF110825
	v_writelane_b32 v11, 0, s22                                // 0000000027C8: D28A000B 00002C80
	s_set_gpr_idx_off                                          // 0000000027D0: BF9C0000
	s_mul_i32 s37, 64, s37                                     // 0000000027D4: 922525C0
	s_add_u32 s37, s22, s37                                    // 0000000027D8: 80252516
	v_writelane_b32 v13, s37, 5                                // 0000000027DC: D28A000D 00010A25
	s_bfm_b64 exec, s18, 0                                     // 0000000027E4: 91FE8012
	buffer_store_dword v13, v9, s[4:7], 0 offen                // 0000000027E8: E0701000 80010D09
	v_rcp_f32_e32 v19, v19                                     // 0000000027F0: 7E264513
	s_nop 0                                                    // 0000000027F4: BF800000
	v_mul_f32_e32 v14, v14, v19                                // 0000000027F8: 0A1C270E
	buffer_store_dword v14, v10, s[8:11], 0 offen              // 0000000027FC: E0701000 80020E0A

0000000000002804 <label_0301>:
	s_waitcnt vmcnt(0) expcnt(0) lgkmcnt(0)                    // 000000002804: BF8C0000
	s_endpgm                                                   // 000000002808: BF810000
